;; amdgpu-corpus repo=ROCm/rocm-examples kind=compiled arch=gfx1250 opt=O3
	.amdgcn_target "amdgcn-amd-amdhsa--gfx1250"
	.amdhsa_code_object_version 6
	.text
	.protected	_Z21matrix_multiply_naivePfS_S_iii ; -- Begin function _Z21matrix_multiply_naivePfS_S_iii
	.globl	_Z21matrix_multiply_naivePfS_S_iii
	.p2align	8
	.type	_Z21matrix_multiply_naivePfS_S_iii,@function
_Z21matrix_multiply_naivePfS_S_iii:     ; @_Z21matrix_multiply_naivePfS_S_iii
; %bb.0:
	s_clause 0x1
	s_load_b32 s2, s[0:1], 0x34
	s_load_b96 s[8:10], s[0:1], 0x18
	s_bfe_u32 s4, ttmp6, 0x4000c
	s_bfe_u32 s5, ttmp6, 0x40010
	s_add_co_i32 s4, s4, 1
	s_add_co_i32 s5, s5, 1
	s_and_b32 s3, ttmp6, 15
	s_bfe_u32 s6, ttmp6, 0x40004
	s_mul_i32 s4, ttmp9, s4
	s_mul_i32 s5, ttmp7, s5
	s_getreg_b32 s7, hwreg(HW_REG_IB_STS2, 6, 4)
	v_and_b32_e32 v1, 0x3ff, v0
	v_bfe_u32 v0, v0, 10, 10
	s_add_co_i32 s3, s3, s4
	s_add_co_i32 s6, s6, s5
	s_wait_kmcnt 0x0
	s_lshr_b32 s4, s2, 16
	s_and_b32 s2, s2, 0xffff
	s_cmp_eq_u32 s7, 0
	s_cselect_b32 s3, ttmp9, s3
	s_cselect_b32 s5, ttmp7, s6
	v_mad_u32 v2, s3, s2, v1
	v_mad_u32 v3, s5, s4, v0
	s_delay_alu instid0(VALU_DEP_2) | instskip(NEXT) | instid1(VALU_DEP_2)
	v_cmp_gt_i32_e32 vcc_lo, s9, v2
	v_cmp_gt_i32_e64 s2, s8, v3
	s_and_b32 s2, vcc_lo, s2
	s_delay_alu instid0(SALU_CYCLE_1)
	s_and_saveexec_b32 s3, s2
	s_cbranch_execz .LBB0_6
; %bb.1:
	s_clause 0x1
	s_load_b128 s[4:7], s[0:1], 0x0
	s_load_b64 s[2:3], s[0:1], 0x10
	s_cmp_lt_i32 s10, 1
	s_cbranch_scc1 .LBB0_4
; %bb.2:
	v_mul_lo_u32 v0, v3, s10
	v_dual_mov_b32 v5, v2 :: v_dual_mov_b32 v4, 0
	s_delay_alu instid0(VALU_DEP_2) | instskip(SKIP_1) | instid1(VALU_DEP_1)
	v_ashrrev_i32_e32 v1, 31, v0
	s_wait_kmcnt 0x0
	v_lshl_add_u64 v[0:1], v[0:1], 2, s[4:5]
.LBB0_3:                                ; =>This Inner Loop Header: Depth=1
	global_load_b32 v6, v[0:1], off
	global_load_b32 v7, v5, s[6:7] scale_offset
	s_wait_xcnt 0x1
	v_add_nc_u64_e32 v[0:1], 4, v[0:1]
	s_wait_xcnt 0x0
	v_add_nc_u32_e32 v5, s9, v5
	s_add_co_i32 s10, s10, -1
	s_delay_alu instid0(SALU_CYCLE_1)
	s_cmp_eq_u32 s10, 0
	s_wait_loadcnt 0x0
	v_fmac_f32_e32 v4, v6, v7
	s_cbranch_scc0 .LBB0_3
	s_branch .LBB0_5
.LBB0_4:
	v_mov_b32_e32 v4, 0
.LBB0_5:
	v_mad_u32 v0, v3, s9, v2
	s_wait_kmcnt 0x0
	global_store_b32 v0, v4, s[2:3] scale_offset
.LBB0_6:
	s_endpgm
	.section	.rodata,"a",@progbits
	.p2align	6, 0x0
	.amdhsa_kernel _Z21matrix_multiply_naivePfS_S_iii
		.amdhsa_group_segment_fixed_size 0
		.amdhsa_private_segment_fixed_size 0
		.amdhsa_kernarg_size 296
		.amdhsa_user_sgpr_count 2
		.amdhsa_user_sgpr_dispatch_ptr 0
		.amdhsa_user_sgpr_queue_ptr 0
		.amdhsa_user_sgpr_kernarg_segment_ptr 1
		.amdhsa_user_sgpr_dispatch_id 0
		.amdhsa_user_sgpr_kernarg_preload_length 0
		.amdhsa_user_sgpr_kernarg_preload_offset 0
		.amdhsa_user_sgpr_private_segment_size 0
		.amdhsa_wavefront_size32 1
		.amdhsa_uses_dynamic_stack 0
		.amdhsa_enable_private_segment 0
		.amdhsa_system_sgpr_workgroup_id_x 1
		.amdhsa_system_sgpr_workgroup_id_y 1
		.amdhsa_system_sgpr_workgroup_id_z 0
		.amdhsa_system_sgpr_workgroup_info 0
		.amdhsa_system_vgpr_workitem_id 1
		.amdhsa_next_free_vgpr 8
		.amdhsa_next_free_sgpr 11
		.amdhsa_named_barrier_count 0
		.amdhsa_reserve_vcc 1
		.amdhsa_float_round_mode_32 0
		.amdhsa_float_round_mode_16_64 0
		.amdhsa_float_denorm_mode_32 3
		.amdhsa_float_denorm_mode_16_64 3
		.amdhsa_fp16_overflow 0
		.amdhsa_memory_ordered 1
		.amdhsa_forward_progress 1
		.amdhsa_inst_pref_size 3
		.amdhsa_round_robin_scheduling 0
		.amdhsa_exception_fp_ieee_invalid_op 0
		.amdhsa_exception_fp_denorm_src 0
		.amdhsa_exception_fp_ieee_div_zero 0
		.amdhsa_exception_fp_ieee_overflow 0
		.amdhsa_exception_fp_ieee_underflow 0
		.amdhsa_exception_fp_ieee_inexact 0
		.amdhsa_exception_int_div_zero 0
	.end_amdhsa_kernel
	.text
.Lfunc_end0:
	.size	_Z21matrix_multiply_naivePfS_S_iii, .Lfunc_end0-_Z21matrix_multiply_naivePfS_S_iii
                                        ; -- End function
	.set _Z21matrix_multiply_naivePfS_S_iii.num_vgpr, 8
	.set _Z21matrix_multiply_naivePfS_S_iii.num_agpr, 0
	.set _Z21matrix_multiply_naivePfS_S_iii.numbered_sgpr, 11
	.set _Z21matrix_multiply_naivePfS_S_iii.num_named_barrier, 0
	.set _Z21matrix_multiply_naivePfS_S_iii.private_seg_size, 0
	.set _Z21matrix_multiply_naivePfS_S_iii.uses_vcc, 1
	.set _Z21matrix_multiply_naivePfS_S_iii.uses_flat_scratch, 0
	.set _Z21matrix_multiply_naivePfS_S_iii.has_dyn_sized_stack, 0
	.set _Z21matrix_multiply_naivePfS_S_iii.has_recursion, 0
	.set _Z21matrix_multiply_naivePfS_S_iii.has_indirect_call, 0
	.section	.AMDGPU.csdata,"",@progbits
; Kernel info:
; codeLenInByte = 332
; TotalNumSgprs: 13
; NumVgprs: 8
; ScratchSize: 0
; MemoryBound: 0
; FloatMode: 240
; IeeeMode: 1
; LDSByteSize: 0 bytes/workgroup (compile time only)
; SGPRBlocks: 0
; VGPRBlocks: 0
; NumSGPRsForWavesPerEU: 13
; NumVGPRsForWavesPerEU: 8
; NamedBarCnt: 0
; Occupancy: 16
; WaveLimiterHint : 0
; COMPUTE_PGM_RSRC2:SCRATCH_EN: 0
; COMPUTE_PGM_RSRC2:USER_SGPR: 2
; COMPUTE_PGM_RSRC2:TRAP_HANDLER: 0
; COMPUTE_PGM_RSRC2:TGID_X_EN: 1
; COMPUTE_PGM_RSRC2:TGID_Y_EN: 1
; COMPUTE_PGM_RSRC2:TGID_Z_EN: 0
; COMPUTE_PGM_RSRC2:TIDIG_COMP_CNT: 1
	.text
	.protected	_Z26matrix_multiply_lds_tilingPfS_S_iii ; -- Begin function _Z26matrix_multiply_lds_tilingPfS_S_iii
	.globl	_Z26matrix_multiply_lds_tilingPfS_S_iii
	.p2align	8
	.type	_Z26matrix_multiply_lds_tilingPfS_S_iii,@function
_Z26matrix_multiply_lds_tilingPfS_S_iii: ; @_Z26matrix_multiply_lds_tilingPfS_S_iii
; %bb.0:
	s_clause 0x2
	s_load_b128 s[4:7], s[0:1], 0x0
	s_load_b64 s[2:3], s[0:1], 0x10
	s_load_b96 s[8:10], s[0:1], 0x18
	s_wait_xcnt 0x0
	s_bfe_u32 s0, ttmp6, 0x4000c
	s_bfe_u32 s11, ttmp6, 0x40010
	s_add_co_i32 s0, s0, 1
	s_and_b32 s1, ttmp6, 15
	s_mul_i32 s0, ttmp9, s0
	s_add_co_i32 s11, s11, 1
	s_add_co_i32 s1, s1, s0
	s_mul_i32 s0, ttmp7, s11
	s_bfe_u32 s11, ttmp6, 0x40004
	s_getreg_b32 s12, hwreg(HW_REG_IB_STS2, 6, 4)
	s_add_co_i32 s11, s11, s0
	s_cmp_eq_u32 s12, 0
	v_and_b32_e32 v3, 0x3ff, v0
	s_cselect_b32 s0, ttmp9, s1
	s_cselect_b32 s11, ttmp7, s11
	s_lshl_b32 s1, s0, 4
	v_bfe_u32 v1, v0, 10, 10
	v_add_nc_u32_e32 v2, s1, v3
	s_wait_kmcnt 0x0
	s_cmp_lt_i32 s10, 1
	s_delay_alu instid0(VALU_DEP_2) | instskip(NEXT) | instid1(VALU_DEP_2)
	v_lshl_add_u32 v0, s11, 4, v1
	v_cmp_gt_i32_e64 s0, s9, v2
	s_delay_alu instid0(VALU_DEP_2)
	v_cmp_gt_i32_e32 vcc_lo, s8, v0
	s_cbranch_scc1 .LBB1_7
; %bb.1:
	v_mul_lo_u32 v9, v1, s9
	v_dual_lshlrev_b32 v7, 2, v3 :: v_dual_lshlrev_b32 v4, 6, v1
	v_mul_lo_u32 v6, s10, v0
	s_add_co_i32 s11, s10, 15
	s_delay_alu instid0(VALU_DEP_2) | instskip(NEXT) | instid1(VALU_DEP_3)
	v_dual_mov_b32 v10, 0 :: v_dual_add_nc_u32 v5, 0x400, v7
	v_add_nc_u32_e32 v7, v4, v7
	s_lshr_b32 s11, s11, 4
	s_lshl_b32 s12, s9, 4
	s_delay_alu instid0(VALU_DEP_2)
	v_add_nc_u32_e32 v8, v5, v4
	v_add3_u32 v9, v3, v9, s1
	s_branch .LBB1_3
.LBB1_2:                                ;   in Loop: Header=BB1_3 Depth=1
	s_wait_xcnt 0x0
	s_or_b32 exec_lo, exec_lo, s1
	s_wait_loadcnt 0x0
	ds_store_b32 v8, v12
	s_wait_dscnt 0x0
	s_barrier_signal -1
	s_barrier_wait -1
	ds_load_b128 v[12:15], v4
	ds_load_2addr_b32 v[20:21], v5 offset1:16
	ds_load_2addr_b32 v[24:25], v5 offset0:32 offset1:48
	ds_load_b128 v[16:19], v4 offset:16
	ds_load_2addr_b32 v[26:27], v5 offset0:64 offset1:80
	ds_load_2addr_b32 v[28:29], v5 offset0:96 offset1:112
	s_add_co_i32 s11, s11, -1
	v_add_nc_u32_e32 v3, 16, v3
	s_cmp_eq_u32 s11, 0
	v_add_nc_u32_e32 v9, s12, v9
	s_wait_dscnt 0x4
	v_dual_fmac_f32 v10, v12, v20 :: v_dual_add_nc_u32 v1, 16, v1
	s_delay_alu instid0(VALU_DEP_1)
	v_fmac_f32_e32 v10, v13, v21
	ds_load_b128 v[20:23], v4 offset:32
	ds_load_2addr_b32 v[30:31], v5 offset0:128 offset1:144
	s_wait_dscnt 0x3
	v_pk_mul_f32 v[12:13], v[16:17], v[26:27]
	s_wait_dscnt 0x2
	v_pk_mul_f32 v[16:17], v[18:19], v[28:29]
	v_fmac_f32_e32 v10, v14, v24
	s_delay_alu instid0(VALU_DEP_1) | instskip(SKIP_4) | instid1(VALU_DEP_1)
	v_fmac_f32_e32 v10, v15, v25
	ds_load_2addr_b32 v[14:15], v5 offset0:160 offset1:176
	s_wait_dscnt 0x1
	v_pk_mul_f32 v[20:21], v[20:21], v[30:31]
	v_add_f32_e32 v10, v10, v12
	v_add_f32_e32 v10, v10, v13
	s_wait_dscnt 0x0
	v_pk_mul_f32 v[14:15], v[22:23], v[14:15]
	s_delay_alu instid0(VALU_DEP_2) | instskip(SKIP_3) | instid1(VALU_DEP_1)
	v_add_f32_e32 v16, v10, v16
	ds_load_b128 v[10:13], v4 offset:48
	ds_load_2addr_b32 v[18:19], v5 offset0:192 offset1:208
	v_add_f32_e32 v16, v16, v17
	v_add_f32_e32 v20, v16, v20
	ds_load_2addr_b32 v[16:17], v5 offset0:224 offset1:240
	s_wait_dscnt 0x0
	s_barrier_signal -1
	s_barrier_wait -1
	v_add_f32_e32 v20, v20, v21
	s_delay_alu instid0(VALU_DEP_1) | instskip(SKIP_1) | instid1(VALU_DEP_2)
	v_add_f32_e32 v14, v20, v14
	v_pk_mul_f32 v[10:11], v[10:11], v[18:19]
	v_add_f32_e32 v14, v14, v15
	s_delay_alu instid0(VALU_DEP_1) | instskip(SKIP_1) | instid1(VALU_DEP_2)
	v_add_f32_e32 v10, v14, v10
	v_pk_mul_f32 v[12:13], v[12:13], v[16:17]
	v_add_f32_e32 v10, v10, v11
	s_delay_alu instid0(VALU_DEP_1) | instskip(NEXT) | instid1(VALU_DEP_1)
	v_add_f32_e32 v10, v10, v12
	v_add_f32_e32 v10, v10, v13
	s_cbranch_scc1 .LBB1_8
.LBB1_3:                                ; =>This Inner Loop Header: Depth=1
	v_cmp_gt_i32_e64 s1, s10, v3
	v_mov_b32_e32 v11, 0
	s_and_b32 s13, vcc_lo, s1
	s_delay_alu instid0(SALU_CYCLE_1)
	s_and_saveexec_b32 s1, s13
	s_cbranch_execz .LBB1_5
; %bb.4:                                ;   in Loop: Header=BB1_3 Depth=1
	v_add_nc_u32_e32 v11, v6, v3
	global_load_b32 v11, v11, s[4:5] scale_offset
.LBB1_5:                                ;   in Loop: Header=BB1_3 Depth=1
	s_wait_xcnt 0x0
	s_or_b32 exec_lo, exec_lo, s1
	v_cmp_gt_i32_e64 s1, s10, v1
	v_mov_b32_e32 v12, 0
	s_wait_loadcnt 0x0
	ds_store_b32 v7, v11
	s_and_b32 s13, s0, s1
	s_delay_alu instid0(SALU_CYCLE_1)
	s_and_saveexec_b32 s1, s13
	s_cbranch_execz .LBB1_2
; %bb.6:                                ;   in Loop: Header=BB1_3 Depth=1
	global_load_b32 v12, v9, s[6:7] scale_offset
	s_branch .LBB1_2
.LBB1_7:
	v_mov_b32_e32 v10, 0
.LBB1_8:
	v_cmp_gt_i32_e32 vcc_lo, s8, v0
	v_cmp_gt_i32_e64 s0, s9, v2
	s_and_b32 s0, vcc_lo, s0
	s_delay_alu instid0(SALU_CYCLE_1)
	s_and_saveexec_b32 s1, s0
	s_cbranch_execz .LBB1_10
; %bb.9:
	v_mad_u32 v0, s9, v0, v2
	global_store_b32 v0, v10, s[2:3] scale_offset
.LBB1_10:
	s_endpgm
	.section	.rodata,"a",@progbits
	.p2align	6, 0x0
	.amdhsa_kernel _Z26matrix_multiply_lds_tilingPfS_S_iii
		.amdhsa_group_segment_fixed_size 2048
		.amdhsa_private_segment_fixed_size 0
		.amdhsa_kernarg_size 36
		.amdhsa_user_sgpr_count 2
		.amdhsa_user_sgpr_dispatch_ptr 0
		.amdhsa_user_sgpr_queue_ptr 0
		.amdhsa_user_sgpr_kernarg_segment_ptr 1
		.amdhsa_user_sgpr_dispatch_id 0
		.amdhsa_user_sgpr_kernarg_preload_length 0
		.amdhsa_user_sgpr_kernarg_preload_offset 0
		.amdhsa_user_sgpr_private_segment_size 0
		.amdhsa_wavefront_size32 1
		.amdhsa_uses_dynamic_stack 0
		.amdhsa_enable_private_segment 0
		.amdhsa_system_sgpr_workgroup_id_x 1
		.amdhsa_system_sgpr_workgroup_id_y 1
		.amdhsa_system_sgpr_workgroup_id_z 0
		.amdhsa_system_sgpr_workgroup_info 0
		.amdhsa_system_vgpr_workitem_id 1
		.amdhsa_next_free_vgpr 32
		.amdhsa_next_free_sgpr 14
		.amdhsa_named_barrier_count 0
		.amdhsa_reserve_vcc 1
		.amdhsa_float_round_mode_32 0
		.amdhsa_float_round_mode_16_64 0
		.amdhsa_float_denorm_mode_32 3
		.amdhsa_float_denorm_mode_16_64 3
		.amdhsa_fp16_overflow 0
		.amdhsa_memory_ordered 1
		.amdhsa_forward_progress 1
		.amdhsa_inst_pref_size 6
		.amdhsa_round_robin_scheduling 0
		.amdhsa_exception_fp_ieee_invalid_op 0
		.amdhsa_exception_fp_denorm_src 0
		.amdhsa_exception_fp_ieee_div_zero 0
		.amdhsa_exception_fp_ieee_overflow 0
		.amdhsa_exception_fp_ieee_underflow 0
		.amdhsa_exception_fp_ieee_inexact 0
		.amdhsa_exception_int_div_zero 0
	.end_amdhsa_kernel
	.text
.Lfunc_end1:
	.size	_Z26matrix_multiply_lds_tilingPfS_S_iii, .Lfunc_end1-_Z26matrix_multiply_lds_tilingPfS_S_iii
                                        ; -- End function
	.set _Z26matrix_multiply_lds_tilingPfS_S_iii.num_vgpr, 32
	.set _Z26matrix_multiply_lds_tilingPfS_S_iii.num_agpr, 0
	.set _Z26matrix_multiply_lds_tilingPfS_S_iii.numbered_sgpr, 14
	.set _Z26matrix_multiply_lds_tilingPfS_S_iii.num_named_barrier, 0
	.set _Z26matrix_multiply_lds_tilingPfS_S_iii.private_seg_size, 0
	.set _Z26matrix_multiply_lds_tilingPfS_S_iii.uses_vcc, 1
	.set _Z26matrix_multiply_lds_tilingPfS_S_iii.uses_flat_scratch, 0
	.set _Z26matrix_multiply_lds_tilingPfS_S_iii.has_dyn_sized_stack, 0
	.set _Z26matrix_multiply_lds_tilingPfS_S_iii.has_recursion, 0
	.set _Z26matrix_multiply_lds_tilingPfS_S_iii.has_indirect_call, 0
	.section	.AMDGPU.csdata,"",@progbits
; Kernel info:
; codeLenInByte = 728
; TotalNumSgprs: 16
; NumVgprs: 32
; ScratchSize: 0
; MemoryBound: 0
; FloatMode: 240
; IeeeMode: 1
; LDSByteSize: 2048 bytes/workgroup (compile time only)
; SGPRBlocks: 0
; VGPRBlocks: 1
; NumSGPRsForWavesPerEU: 16
; NumVGPRsForWavesPerEU: 32
; NamedBarCnt: 0
; Occupancy: 16
; WaveLimiterHint : 0
; COMPUTE_PGM_RSRC2:SCRATCH_EN: 0
; COMPUTE_PGM_RSRC2:USER_SGPR: 2
; COMPUTE_PGM_RSRC2:TRAP_HANDLER: 0
; COMPUTE_PGM_RSRC2:TGID_X_EN: 1
; COMPUTE_PGM_RSRC2:TGID_Y_EN: 1
; COMPUTE_PGM_RSRC2:TGID_Z_EN: 0
; COMPUTE_PGM_RSRC2:TIDIG_COMP_CNT: 1
	.text
	.protected	_Z31matrix_multiply_register_tilingPfS_S_iii ; -- Begin function _Z31matrix_multiply_register_tilingPfS_S_iii
	.globl	_Z31matrix_multiply_register_tilingPfS_S_iii
	.p2align	8
	.type	_Z31matrix_multiply_register_tilingPfS_S_iii,@function
_Z31matrix_multiply_register_tilingPfS_S_iii: ; @_Z31matrix_multiply_register_tilingPfS_S_iii
; %bb.0:
	s_clause 0x1
	s_load_b32 s2, s[0:1], 0x34
	s_load_b96 s[24:26], s[0:1], 0x18
	v_and_b32_e32 v1, 0x3ff, v0
	v_bfe_u32 v0, v0, 10, 10
	s_clause 0x1
	s_load_b128 s[20:23], s[0:1], 0x0
	s_load_b64 s[18:19], s[0:1], 0x10
	s_bfe_u32 s4, ttmp6, 0x4000c
	s_bfe_u32 s5, ttmp6, 0x40010
	s_add_co_i32 s4, s4, 1
	s_add_co_i32 s5, s5, 1
	s_and_b32 s3, ttmp6, 15
	s_bfe_u32 s6, ttmp6, 0x40004
	s_wait_xcnt 0x0
	s_mul_i32 s1, ttmp7, s5
	s_getreg_b32 s7, hwreg(HW_REG_IB_STS2, 6, 4)
	s_add_co_i32 s6, s6, s1
	s_mov_b32 s28, 0
	s_wait_kmcnt 0x0
	s_and_b32 s0, s2, 0xffff
	s_delay_alu instid0(SALU_CYCLE_1) | instskip(SKIP_1) | instid1(SALU_CYCLE_1)
	v_mad_u32_u24 v0, v0, s0, v1
	s_mul_i32 s0, ttmp9, s4
	s_add_co_i32 s3, s3, s0
	s_cmp_eq_u32 s7, 0
	s_delay_alu instid0(VALU_DEP_1) | instskip(SKIP_3) | instid1(VALU_DEP_2)
	v_dual_lshlrev_b32 v1, 2, v0 :: v_dual_bitop2_b32 v2, 28, v0 bitop3:0x40
	v_lshrrev_b32_e32 v3, 1, v0
	s_cselect_b32 s0, ttmp9, s3
	s_cselect_b32 s1, ttmp7, s6
	v_and_b32_e32 v1, 12, v1
	s_lshl_b32 s17, s1, 6
	v_and_or_b32 v46, 0x3ffffe0, v3, v2
	s_lshl_b32 s27, s0, 5
	s_cmp_lt_i32 s26, 1
	v_and_or_b32 v47, v3, 16, v1
	s_cbranch_scc1 .LBB2_75
; %bb.1:
	v_dual_lshrrev_b32 v2, 4, v0 :: v_dual_bitop2_b32 v1, 31, v0 bitop3:0x40
	v_and_b32_e32 v48, 15, v0
	v_dual_mov_b32 v24, 0 :: v_dual_add_nc_u32 v3, 0x80, v0
	v_dual_mov_b32 v26, 0 :: v_dual_add_nc_u32 v11, 0x180, v0
	s_delay_alu instid0(VALU_DEP_4) | instskip(NEXT) | instid1(VALU_DEP_4)
	v_dual_add_nc_u32 v7, s17, v2 :: v_dual_bitop2_b32 v4, s27, v1 bitop3:0x54
	v_dual_lshlrev_b32 v5, 2, v48 :: v_dual_mov_b32 v77, 0
	v_dual_mov_b32 v28, 0 :: v_dual_add_nc_u32 v13, 0x200, v0
	s_delay_alu instid0(VALU_DEP_3) | instskip(SKIP_4) | instid1(VALU_DEP_4)
	v_cmp_gt_i32_e32 vcc_lo, s25, v4
	v_add_nc_u32_e32 v4, 0x100, v0
	v_lshrrev_b32_e32 v8, 4, v3
	v_mad_u32_u24 v51, 0x50, v2, v5
	v_dual_lshrrev_b32 v12, 4, v11 :: v_dual_lshrrev_b32 v13, 4, v13
	v_lshrrev_b32_e32 v10, 4, v4
	s_delay_alu instid0(VALU_DEP_4) | instskip(SKIP_1) | instid1(VALU_DEP_4)
	v_add_nc_u32_e32 v9, s17, v8
	v_mad_u32_u24 v52, 0x50, v8, v5
	v_dual_add_nc_u32 v8, s17, v12 :: v_dual_add_nc_u32 v14, s17, v13
	s_delay_alu instid0(VALU_DEP_4) | instskip(SKIP_4) | instid1(VALU_DEP_3)
	v_add_nc_u32_e32 v2, s17, v10
	v_mad_u32_u24 v53, 0x50, v10, v5
	v_dual_mov_b32 v25, v77 :: v_dual_add_nc_u32 v10, 0x280, v0
	v_dual_mov_b32 v30, 0 :: v_dual_add_nc_u32 v15, 0x300, v0
	v_mad_u32_u24 v54, 0x50, v12, v5
	v_lshrrev_b32_e32 v10, 4, v10
	v_dual_mov_b32 v27, v77 :: v_dual_add_nc_u32 v12, 0x380, v0
	s_delay_alu instid0(VALU_DEP_4) | instskip(SKIP_1) | instid1(VALU_DEP_3)
	v_lshrrev_b32_e32 v15, 4, v15
	v_mad_u32_u24 v55, 0x50, v13, v5
	v_dual_add_nc_u32 v16, s17, v10 :: v_dual_lshrrev_b32 v12, 4, v12
	v_dual_lshrrev_b32 v58, 5, v0 :: v_dual_lshrrev_b32 v59, 5, v3
	s_delay_alu instid0(VALU_DEP_4) | instskip(NEXT) | instid1(VALU_DEP_3)
	v_dual_add_nc_u32 v13, s17, v15 :: v_dual_lshrrev_b32 v60, 5, v4
	v_dual_lshrrev_b32 v61, 5, v11 :: v_dual_add_nc_u32 v17, s17, v12
	v_mul_lo_u32 v49, 0x50, v46
	s_delay_alu instid0(VALU_DEP_4)
	v_mul_lo_u32 v67, s25, v58
	v_mul_lo_u32 v69, s25, v59
	;; [unrolled: 1-line block ×4, first 2 shown]
	v_mad_u32 v72, v17, s26, v48
	v_mad_u32 v73, v13, s26, v48
	;; [unrolled: 1-line block ×8, first 2 shown]
	v_lshl_or_b32 v6, v1, 2, 0x1400
	v_lshl_or_b32 v50, v47, 2, 0x1400
	v_cmp_gt_i32_e64 s0, s24, v7
	v_cmp_gt_u32_e64 s1, 0x400, v0
	v_cmp_gt_i32_e64 s2, s24, v9
	v_cmp_gt_u32_e64 s3, 0x380, v0
	;; [unrolled: 2-line block ×6, first 2 shown]
	v_mad_u32_u24 v56, 0x50, v10, v5
	v_cmp_gt_i32_e64 s12, s24, v13
	v_cmp_gt_u32_e64 s13, 0x100, v0
	v_mad_u32_u24 v57, 0x50, v15, v5
	v_cmp_gt_i32_e64 s14, s24, v17
	v_cmp_gt_u32_e64 s15, 0x80, v0
	v_mad_u32_u24 v62, 0x50, v12, v5
	v_lshl_add_u32 v63, v58, 7, v6
	v_lshl_add_u32 v64, v59, 7, v6
	;; [unrolled: 1-line block ×4, first 2 shown]
	v_dual_mov_b32 v29, v77 :: v_dual_add_nc_u32 v68, s27, v1
	v_dual_mov_b32 v31, v77 :: v_dual_mov_b32 v32, 0
	v_dual_mov_b32 v33, v77 :: v_dual_mov_b32 v38, 0
	;; [unrolled: 1-line block ×4, first 2 shown]
	v_mov_b32_e32 v41, v77
	s_add_co_i32 s16, s26, 15
	s_lshl_b32 s30, s25, 4
	s_lshr_b32 s29, s16, 4
	s_branch .LBB2_3
.LBB2_2:                                ;   in Loop: Header=BB2_3 Depth=1
	s_or_b32 exec_lo, exec_lo, s16
	s_wait_dscnt 0x0
	s_barrier_signal -1
	s_barrier_wait -1
	ds_load_b128 v[82:85], v49 offset:240
	ds_load_b128 v[42:45], v50
	ds_load_b128 v[86:89], v49
	ds_load_b128 v[12:15], v49 offset:80
	ds_load_b128 v[20:23], v49 offset:160
	;; [unrolled: 1-line block ×7, first 2 shown]
	v_add_nc_u32_e32 v68, s30, v68
	s_add_co_i32 s29, s29, -1
	s_add_co_i32 s28, s28, 16
	s_cmp_eq_u32 s29, 0
	s_wait_dscnt 0x8
	v_pk_fma_f32 v[34:35], v[82:83], v[42:43], v[26:27] op_sel_hi:[0,1,1]
	s_wait_dscnt 0x7
	v_pk_fma_f32 v[40:41], v[86:87], v[42:43], v[40:41] op_sel_hi:[0,1,1]
	;; [unrolled: 2-line block ×4, first 2 shown]
	v_pk_fma_f32 v[30:31], v[82:83], v[44:45], v[24:25] op_sel_hi:[0,1,1]
	ds_load_b128 v[24:27], v50 offset:256
	v_pk_fma_f32 v[36:37], v[86:87], v[44:45], v[36:37] op_sel_hi:[0,1,1]
	v_pk_fma_f32 v[94:95], v[12:13], v[44:45], v[32:33] op_sel_hi:[0,1,1]
	;; [unrolled: 1-line block ×3, first 2 shown]
	s_wait_dscnt 0x1
	v_pk_fma_f32 v[32:33], v[82:83], v[90:91], v[34:35] op_sel:[1,0,0]
	v_pk_fma_f32 v[34:35], v[82:83], v[92:93], v[30:31] op_sel:[1,0,0]
	ds_load_b128 v[28:31], v50 offset:384
	v_pk_fma_f32 v[40:41], v[86:87], v[90:91], v[40:41] op_sel:[1,0,0]
	v_pk_fma_f32 v[36:37], v[86:87], v[92:93], v[36:37] op_sel:[1,0,0]
	v_mov_b32_e32 v86, v89
	s_wait_dscnt 0x1
	v_pk_fma_f32 v[44:45], v[84:85], v[24:25], v[32:33] op_sel_hi:[0,1,1]
	v_pk_fma_f32 v[32:33], v[84:85], v[26:27], v[34:35] op_sel_hi:[0,1,1]
	v_mov_b32_e32 v34, v85
	v_pk_fma_f32 v[82:83], v[88:89], v[24:25], v[40:41] op_sel_hi:[0,1,1]
	v_pk_fma_f32 v[84:85], v[88:89], v[26:27], v[36:37] op_sel_hi:[0,1,1]
	v_pk_fma_f32 v[36:37], v[12:13], v[90:91], v[38:39] op_sel:[1,0,0]
	v_pk_fma_f32 v[38:39], v[20:21], v[90:91], v[42:43] op_sel:[1,0,0]
	;; [unrolled: 1-line block ×4, first 2 shown]
	ds_load_b128 v[40:43], v50 offset:512
	v_pk_fma_f32 v[88:89], v[14:15], v[24:25], v[36:37] op_sel_hi:[0,1,1]
	v_pk_fma_f32 v[90:91], v[22:23], v[24:25], v[38:39] op_sel_hi:[0,1,1]
	;; [unrolled: 1-line block ×4, first 2 shown]
	ds_load_b128 v[24:27], v50 offset:640
	ds_load_b128 v[36:39], v50 offset:768
	s_wait_dscnt 0x3
	v_pk_fma_f32 v[82:83], v[86:87], v[28:29], v[82:83] op_sel_hi:[0,1,1]
	v_dual_mov_b32 v14, v15 :: v_dual_mov_b32 v22, v23
	v_pk_fma_f32 v[44:45], v[34:35], v[28:29], v[44:45] op_sel_hi:[0,1,1]
	v_pk_fma_f32 v[84:85], v[86:87], v[30:31], v[84:85] op_sel_hi:[0,1,1]
	;; [unrolled: 1-line block ×3, first 2 shown]
	ds_load_b128 v[32:35], v50 offset:896
	v_pk_fma_f32 v[88:89], v[14:15], v[28:29], v[88:89] op_sel_hi:[0,1,1]
	v_pk_fma_f32 v[92:93], v[14:15], v[30:31], v[12:13] op_sel_hi:[0,1,1]
	;; [unrolled: 1-line block ×4, first 2 shown]
	ds_load_b128 v[28:31], v49 offset:32
	ds_load_b128 v[12:15], v49 offset:48
	s_wait_dscnt 0x5
	v_pk_fma_f32 v[82:83], v[16:17], v[40:41], v[82:83] op_sel_hi:[0,1,1]
	v_pk_fma_f32 v[84:85], v[16:17], v[42:43], v[84:85] op_sel_hi:[0,1,1]
	s_wait_dscnt 0x4
	s_delay_alu instid0(VALU_DEP_2) | instskip(NEXT) | instid1(VALU_DEP_2)
	v_pk_fma_f32 v[22:23], v[16:17], v[24:25], v[82:83] op_sel:[1,0,0]
	v_pk_fma_f32 v[16:17], v[16:17], v[26:27], v[84:85] op_sel:[1,0,0]
	v_pk_fma_f32 v[82:83], v[8:9], v[40:41], v[88:89] op_sel_hi:[0,1,1]
	v_pk_fma_f32 v[88:89], v[8:9], v[42:43], v[92:93] op_sel_hi:[0,1,1]
	;; [unrolled: 1-line block ×4, first 2 shown]
	s_wait_dscnt 0x3
	v_pk_fma_f32 v[44:45], v[18:19], v[36:37], v[22:23] op_sel_hi:[0,1,1]
	v_pk_fma_f32 v[16:17], v[18:19], v[38:39], v[16:17] op_sel_hi:[0,1,1]
	v_mov_b32_e32 v18, v19
	v_pk_fma_f32 v[90:91], v[4:5], v[42:43], v[20:21] op_sel_hi:[0,1,1]
	v_pk_fma_f32 v[42:43], v[0:1], v[42:43], v[86:87] op_sel_hi:[0,1,1]
	v_pk_fma_f32 v[82:83], v[8:9], v[24:25], v[82:83] op_sel:[1,0,0]
	v_pk_fma_f32 v[8:9], v[8:9], v[26:27], v[88:89] op_sel:[1,0,0]
	ds_load_b128 v[20:23], v49 offset:112
	v_pk_fma_f32 v[84:85], v[4:5], v[24:25], v[84:85] op_sel:[1,0,0]
	v_pk_fma_f32 v[4:5], v[4:5], v[26:27], v[90:91] op_sel:[1,0,0]
	;; [unrolled: 1-line block ×4, first 2 shown]
	ds_load_b128 v[40:43], v50 offset:1024
	v_pk_fma_f32 v[26:27], v[10:11], v[36:37], v[82:83] op_sel_hi:[0,1,1]
	v_pk_fma_f32 v[82:83], v[10:11], v[38:39], v[8:9] op_sel_hi:[0,1,1]
	v_mov_b32_e32 v88, v11
	s_wait_dscnt 0x4
	v_pk_fma_f32 v[44:45], v[18:19], v[32:33], v[44:45] op_sel_hi:[0,1,1]
	v_pk_fma_f32 v[86:87], v[18:19], v[34:35], v[16:17] op_sel_hi:[0,1,1]
	ds_load_b128 v[16:19], v49 offset:192
	ds_load_b128 v[8:11], v49 offset:272
	v_pk_fma_f32 v[84:85], v[6:7], v[36:37], v[84:85] op_sel_hi:[0,1,1]
	v_mov_b32_e32 v90, v7
	v_pk_fma_f32 v[92:93], v[6:7], v[38:39], v[4:5] op_sel_hi:[0,1,1]
	v_pk_fma_f32 v[24:25], v[2:3], v[36:37], v[24:25] op_sel_hi:[0,1,1]
	v_pk_fma_f32 v[0:1], v[2:3], v[38:39], v[0:1] op_sel_hi:[0,1,1]
	v_mov_b32_e32 v2, v3
	v_pk_fma_f32 v[94:95], v[88:89], v[32:33], v[26:27] op_sel_hi:[0,1,1]
	v_pk_fma_f32 v[82:83], v[88:89], v[34:35], v[82:83] op_sel_hi:[0,1,1]
	ds_load_b128 v[36:39], v50 offset:1152
	v_pk_fma_f32 v[84:85], v[90:91], v[32:33], v[84:85] op_sel_hi:[0,1,1]
	v_pk_fma_f32 v[88:89], v[90:91], v[34:35], v[92:93] op_sel_hi:[0,1,1]
	;; [unrolled: 1-line block ×4, first 2 shown]
	ds_load_b128 v[4:7], v49 offset:128
	ds_load_b128 v[24:27], v49 offset:208
	;; [unrolled: 1-line block ×3, first 2 shown]
	s_wait_dscnt 0x6
	v_pk_fma_f32 v[44:45], v[28:29], v[40:41], v[44:45] op_sel_hi:[0,1,1]
	v_pk_fma_f32 v[86:87], v[28:29], v[42:43], v[86:87] op_sel_hi:[0,1,1]
	;; [unrolled: 1-line block ×4, first 2 shown]
	s_wait_dscnt 0x5
	v_pk_fma_f32 v[84:85], v[16:17], v[40:41], v[84:85] op_sel_hi:[0,1,1]
	v_pk_fma_f32 v[88:89], v[16:17], v[42:43], v[88:89] op_sel_hi:[0,1,1]
	s_wait_dscnt 0x4
	v_pk_fma_f32 v[92:93], v[8:9], v[40:41], v[32:33] op_sel_hi:[0,1,1]
	v_pk_fma_f32 v[94:95], v[8:9], v[42:43], v[34:35] op_sel_hi:[0,1,1]
	ds_load_b128 v[40:43], v50 offset:1280
	ds_load_b128 v[32:35], v50 offset:1408
	s_wait_dscnt 0x5
	v_pk_fma_f32 v[44:45], v[28:29], v[36:37], v[44:45] op_sel:[1,0,0]
	v_pk_fma_f32 v[28:29], v[28:29], v[38:39], v[86:87] op_sel:[1,0,0]
	s_wait_dscnt 0x1
	s_delay_alu instid0(VALU_DEP_2) | instskip(NEXT) | instid1(VALU_DEP_2)
	v_pk_fma_f32 v[44:45], v[30:31], v[40:41], v[44:45] op_sel_hi:[0,1,1]
	v_pk_fma_f32 v[28:29], v[30:31], v[42:43], v[28:29] op_sel_hi:[0,1,1]
	v_mov_b32_e32 v30, v31
	s_wait_dscnt 0x0
	s_delay_alu instid0(VALU_DEP_1)
	v_pk_fma_f32 v[86:87], v[30:31], v[32:33], v[44:45] op_sel_hi:[0,1,1]
	v_pk_fma_f32 v[44:45], v[20:21], v[36:37], v[90:91] op_sel:[1,0,0]
	v_pk_fma_f32 v[20:21], v[20:21], v[38:39], v[82:83] op_sel:[1,0,0]
	;; [unrolled: 1-line block ×6, first 2 shown]
	v_pk_fma_f32 v[38:39], v[22:23], v[40:41], v[44:45] op_sel_hi:[0,1,1]
	v_pk_fma_f32 v[20:21], v[22:23], v[42:43], v[20:21] op_sel_hi:[0,1,1]
	;; [unrolled: 1-line block ×4, first 2 shown]
	v_mov_b32_e32 v10, v15
	v_pk_fma_f32 v[96:97], v[30:31], v[34:35], v[28:29] op_sel_hi:[0,1,1]
	ds_load_b128 v[28:31], v50 offset:1536
	v_pk_fma_f32 v[16:17], v[18:19], v[42:43], v[16:17] op_sel_hi:[0,1,1]
	ds_load_b128 v[42:45], v50 offset:1664
	v_pk_fma_f32 v[90:91], v[18:19], v[40:41], v[82:83] op_sel_hi:[0,1,1]
	v_mov_b32_e32 v18, v7
	s_wait_dscnt 0x1
	v_pk_fma_f32 v[36:37], v[12:13], v[28:29], v[86:87] op_sel_hi:[0,1,1]
	ds_load_b128 v[82:85], v50 offset:1792
	ds_load_b128 v[86:89], v50 offset:1920
	v_pk_fma_f32 v[40:41], v[12:13], v[30:31], v[96:97] op_sel_hi:[0,1,1]
	s_wait_dscnt 0x0
	s_barrier_signal -1
	v_pk_fma_f32 v[36:37], v[12:13], v[42:43], v[36:37] op_sel:[1,0,0]
	s_barrier_wait -1
	v_pk_fma_f32 v[12:13], v[12:13], v[44:45], v[40:41] op_sel:[1,0,0]
	s_delay_alu instid0(VALU_DEP_2) | instskip(NEXT) | instid1(VALU_DEP_2)
	v_pk_fma_f32 v[36:37], v[14:15], v[82:83], v[36:37] op_sel_hi:[0,1,1]
	v_pk_fma_f32 v[12:13], v[14:15], v[84:85], v[12:13] op_sel_hi:[0,1,1]
	v_mov_b32_e32 v14, v23
	s_delay_alu instid0(VALU_DEP_3) | instskip(NEXT) | instid1(VALU_DEP_3)
	v_pk_fma_f32 v[40:41], v[10:11], v[86:87], v[36:37] op_sel_hi:[0,1,1]
	v_pk_fma_f32 v[36:37], v[10:11], v[88:89], v[12:13] op_sel_hi:[0,1,1]
	v_mov_b32_e32 v10, v19
	s_delay_alu instid0(VALU_DEP_4) | instskip(SKIP_2) | instid1(VALU_DEP_4)
	v_pk_fma_f32 v[12:13], v[14:15], v[32:33], v[38:39] op_sel_hi:[0,1,1]
	v_pk_fma_f32 v[14:15], v[14:15], v[34:35], v[20:21] op_sel_hi:[0,1,1]
	v_mov_b32_e32 v20, v11
	v_pk_fma_f32 v[22:23], v[10:11], v[32:33], v[90:91] op_sel_hi:[0,1,1]
	s_delay_alu instid0(VALU_DEP_4) | instskip(SKIP_1) | instid1(VALU_DEP_4)
	v_pk_fma_f32 v[12:13], v[4:5], v[28:29], v[12:13] op_sel_hi:[0,1,1]
	v_pk_fma_f32 v[10:11], v[10:11], v[34:35], v[16:17] op_sel_hi:[0,1,1]
	;; [unrolled: 1-line block ×3, first 2 shown]
	s_delay_alu instid0(VALU_DEP_4) | instskip(NEXT) | instid1(VALU_DEP_4)
	v_pk_fma_f32 v[16:17], v[24:25], v[28:29], v[22:23] op_sel_hi:[0,1,1]
	v_pk_fma_f32 v[12:13], v[4:5], v[42:43], v[12:13] op_sel:[1,0,0]
	s_delay_alu instid0(VALU_DEP_4) | instskip(NEXT) | instid1(VALU_DEP_4)
	v_pk_fma_f32 v[10:11], v[24:25], v[30:31], v[10:11] op_sel_hi:[0,1,1]
	v_pk_fma_f32 v[8:9], v[0:1], v[30:31], v[8:9] op_sel_hi:[0,1,1]
	s_delay_alu instid0(VALU_DEP_3) | instskip(NEXT) | instid1(VALU_DEP_1)
	v_pk_fma_f32 v[12:13], v[6:7], v[82:83], v[12:13] op_sel_hi:[0,1,1]
	v_pk_fma_f32 v[38:39], v[18:19], v[86:87], v[12:13] op_sel_hi:[0,1,1]
	;; [unrolled: 1-line block ×4, first 2 shown]
	s_delay_alu instid0(VALU_DEP_2) | instskip(NEXT) | instid1(VALU_DEP_2)
	v_pk_fma_f32 v[4:5], v[4:5], v[44:45], v[12:13] op_sel:[1,0,0]
	v_pk_fma_f32 v[12:13], v[0:1], v[28:29], v[14:15] op_sel_hi:[0,1,1]
	v_pk_fma_f32 v[14:15], v[24:25], v[42:43], v[16:17] op_sel:[1,0,0]
	s_delay_alu instid0(VALU_DEP_3) | instskip(SKIP_1) | instid1(VALU_DEP_4)
	v_pk_fma_f32 v[4:5], v[6:7], v[84:85], v[4:5] op_sel_hi:[0,1,1]
	v_pk_fma_f32 v[6:7], v[24:25], v[44:45], v[10:11] op_sel:[1,0,0]
	v_pk_fma_f32 v[10:11], v[0:1], v[42:43], v[12:13] op_sel:[1,0,0]
	;; [unrolled: 1-line block ×3, first 2 shown]
	v_pk_fma_f32 v[12:13], v[26:27], v[82:83], v[14:15] op_sel_hi:[0,1,1]
	v_dual_mov_b32 v8, v27 :: v_dual_mov_b32 v14, v3
	v_pk_fma_f32 v[6:7], v[26:27], v[84:85], v[6:7] op_sel_hi:[0,1,1]
	v_pk_fma_f32 v[10:11], v[2:3], v[82:83], v[10:11] op_sel_hi:[0,1,1]
	;; [unrolled: 1-line block ×8, first 2 shown]
	s_cbranch_scc1 .LBB2_76
.LBB2_3:                                ; =>This Inner Loop Header: Depth=1
	v_add_nc_u32_e32 v0, s28, v48
	s_delay_alu instid0(VALU_DEP_1) | instskip(SKIP_1) | instid1(SALU_CYCLE_1)
	v_cmp_gt_i32_e64 s16, s26, v0
	s_and_b32 s31, s0, s16
	s_and_b32 s31, s31, s1
	s_delay_alu instid0(SALU_CYCLE_1) | instskip(NEXT) | instid1(SALU_CYCLE_1)
	s_xor_b32 s31, s31, -1
	s_and_saveexec_b32 s33, s31
	s_delay_alu instid0(SALU_CYCLE_1)
	s_xor_b32 s31, exec_lo, s33
	s_cbranch_execz .LBB2_7
; %bb.4:                                ;   in Loop: Header=BB2_3 Depth=1
	s_and_saveexec_b32 s33, s1
; %bb.5:                                ;   in Loop: Header=BB2_3 Depth=1
	ds_store_b32 v51, v77
; %bb.6:                                ;   in Loop: Header=BB2_3 Depth=1
	s_or_b32 exec_lo, exec_lo, s33
.LBB2_7:                                ;   in Loop: Header=BB2_3 Depth=1
	s_and_not1_saveexec_b32 s31, s31
	s_cbranch_execz .LBB2_9
; %bb.8:                                ;   in Loop: Header=BB2_3 Depth=1
	v_add_nc_u32_e32 v0, s28, v80
	global_load_b32 v0, v0, s[20:21] scale_offset
	s_wait_loadcnt 0x0
	ds_store_b32 v51, v0
.LBB2_9:                                ;   in Loop: Header=BB2_3 Depth=1
	s_or_b32 exec_lo, exec_lo, s31
	s_and_b32 s31, s2, s16
	s_delay_alu instid0(SALU_CYCLE_1) | instskip(NEXT) | instid1(SALU_CYCLE_1)
	s_and_b32 s31, s31, s3
	s_xor_b32 s31, s31, -1
	s_delay_alu instid0(SALU_CYCLE_1) | instskip(NEXT) | instid1(SALU_CYCLE_1)
	s_and_saveexec_b32 s33, s31
	s_xor_b32 s31, exec_lo, s33
	s_cbranch_execz .LBB2_13
; %bb.10:                               ;   in Loop: Header=BB2_3 Depth=1
	s_and_saveexec_b32 s33, s3
; %bb.11:                               ;   in Loop: Header=BB2_3 Depth=1
	ds_store_b32 v52, v77
; %bb.12:                               ;   in Loop: Header=BB2_3 Depth=1
	s_or_b32 exec_lo, exec_lo, s33
.LBB2_13:                               ;   in Loop: Header=BB2_3 Depth=1
	s_and_not1_saveexec_b32 s31, s31
	s_cbranch_execz .LBB2_15
; %bb.14:                               ;   in Loop: Header=BB2_3 Depth=1
	v_add_nc_u32_e32 v0, s28, v79
	global_load_b32 v0, v0, s[20:21] scale_offset
	s_wait_loadcnt 0x0
	ds_store_b32 v52, v0
.LBB2_15:                               ;   in Loop: Header=BB2_3 Depth=1
	s_or_b32 exec_lo, exec_lo, s31
	s_and_b32 s31, s4, s16
	s_delay_alu instid0(SALU_CYCLE_1) | instskip(NEXT) | instid1(SALU_CYCLE_1)
	s_and_b32 s31, s31, s5
	s_xor_b32 s31, s31, -1
	s_delay_alu instid0(SALU_CYCLE_1) | instskip(NEXT) | instid1(SALU_CYCLE_1)
	s_and_saveexec_b32 s33, s31
	s_xor_b32 s31, exec_lo, s33
	s_cbranch_execz .LBB2_19
; %bb.16:                               ;   in Loop: Header=BB2_3 Depth=1
	s_and_saveexec_b32 s33, s5
; %bb.17:                               ;   in Loop: Header=BB2_3 Depth=1
	ds_store_b32 v53, v77
; %bb.18:                               ;   in Loop: Header=BB2_3 Depth=1
	s_or_b32 exec_lo, exec_lo, s33
.LBB2_19:                               ;   in Loop: Header=BB2_3 Depth=1
	s_and_not1_saveexec_b32 s31, s31
	s_cbranch_execz .LBB2_21
; %bb.20:                               ;   in Loop: Header=BB2_3 Depth=1
	v_add_nc_u32_e32 v0, s28, v78
	global_load_b32 v0, v0, s[20:21] scale_offset
	s_wait_loadcnt 0x0
	ds_store_b32 v53, v0
.LBB2_21:                               ;   in Loop: Header=BB2_3 Depth=1
	;; [unrolled: 24-line block ×7, first 2 shown]
	s_or_b32 exec_lo, exec_lo, s16
	v_add_nc_u32_e32 v0, s28, v58
	s_delay_alu instid0(VALU_DEP_1) | instskip(SKIP_1) | instid1(SALU_CYCLE_1)
	v_cmp_gt_i32_e64 s16, s26, v0
	s_and_b32 s16, s16, vcc_lo
	s_and_b32 s16, s16, s9
	s_delay_alu instid0(SALU_CYCLE_1) | instskip(NEXT) | instid1(SALU_CYCLE_1)
	s_xor_b32 s16, s16, -1
	s_and_saveexec_b32 s31, s16
	s_delay_alu instid0(SALU_CYCLE_1)
	s_xor_b32 s16, exec_lo, s31
	s_cbranch_execz .LBB2_55
; %bb.52:                               ;   in Loop: Header=BB2_3 Depth=1
	s_and_saveexec_b32 s31, s9
; %bb.53:                               ;   in Loop: Header=BB2_3 Depth=1
	ds_store_b32 v63, v77
; %bb.54:                               ;   in Loop: Header=BB2_3 Depth=1
	s_or_b32 exec_lo, exec_lo, s31
.LBB2_55:                               ;   in Loop: Header=BB2_3 Depth=1
	s_and_not1_saveexec_b32 s16, s16
	s_cbranch_execz .LBB2_57
; %bb.56:                               ;   in Loop: Header=BB2_3 Depth=1
	v_add_nc_u32_e32 v0, v67, v68
	global_load_b32 v0, v0, s[22:23] scale_offset
	s_wait_loadcnt 0x0
	ds_store_b32 v63, v0
.LBB2_57:                               ;   in Loop: Header=BB2_3 Depth=1
	s_or_b32 exec_lo, exec_lo, s16
	v_add_nc_u32_e32 v0, s28, v59
	s_delay_alu instid0(VALU_DEP_1) | instskip(SKIP_1) | instid1(SALU_CYCLE_1)
	v_cmp_gt_i32_e64 s16, s26, v0
	s_and_b32 s16, s16, vcc_lo
	s_and_b32 s16, s16, s11
	s_delay_alu instid0(SALU_CYCLE_1) | instskip(NEXT) | instid1(SALU_CYCLE_1)
	s_xor_b32 s16, s16, -1
	s_and_saveexec_b32 s31, s16
	s_delay_alu instid0(SALU_CYCLE_1)
	s_xor_b32 s16, exec_lo, s31
	s_cbranch_execz .LBB2_61
; %bb.58:                               ;   in Loop: Header=BB2_3 Depth=1
	s_and_saveexec_b32 s31, s11
; %bb.59:                               ;   in Loop: Header=BB2_3 Depth=1
	ds_store_b32 v64, v77
; %bb.60:                               ;   in Loop: Header=BB2_3 Depth=1
	s_or_b32 exec_lo, exec_lo, s31
.LBB2_61:                               ;   in Loop: Header=BB2_3 Depth=1
	s_and_not1_saveexec_b32 s16, s16
	s_cbranch_execz .LBB2_63
; %bb.62:                               ;   in Loop: Header=BB2_3 Depth=1
	v_add_nc_u32_e32 v0, v69, v68
	global_load_b32 v0, v0, s[22:23] scale_offset
	s_wait_loadcnt 0x0
	ds_store_b32 v64, v0
.LBB2_63:                               ;   in Loop: Header=BB2_3 Depth=1
	;; [unrolled: 27-line block ×3, first 2 shown]
	s_or_b32 exec_lo, exec_lo, s16
	v_add_nc_u32_e32 v0, s28, v61
	s_delay_alu instid0(VALU_DEP_1) | instskip(SKIP_1) | instid1(SALU_CYCLE_1)
	v_cmp_gt_i32_e64 s16, s26, v0
	s_and_b32 s16, s16, vcc_lo
	s_and_b32 s16, s16, s15
	s_delay_alu instid0(SALU_CYCLE_1) | instskip(NEXT) | instid1(SALU_CYCLE_1)
	s_xor_b32 s16, s16, -1
	s_and_saveexec_b32 s31, s16
	s_delay_alu instid0(SALU_CYCLE_1)
	s_xor_b32 s16, exec_lo, s31
	s_cbranch_execz .LBB2_73
; %bb.70:                               ;   in Loop: Header=BB2_3 Depth=1
	s_and_saveexec_b32 s31, s15
; %bb.71:                               ;   in Loop: Header=BB2_3 Depth=1
	ds_store_b32 v66, v77
; %bb.72:                               ;   in Loop: Header=BB2_3 Depth=1
	s_or_b32 exec_lo, exec_lo, s31
.LBB2_73:                               ;   in Loop: Header=BB2_3 Depth=1
	s_and_not1_saveexec_b32 s16, s16
	s_cbranch_execz .LBB2_2
; %bb.74:                               ;   in Loop: Header=BB2_3 Depth=1
	v_add_nc_u32_e32 v0, v71, v68
	global_load_b32 v0, v0, s[22:23] scale_offset
	s_wait_loadcnt 0x0
	ds_store_b32 v66, v0
	s_branch .LBB2_2
.LBB2_75:
	v_mov_b32_e32 v25, 0
	s_delay_alu instid0(VALU_DEP_1)
	v_dual_mov_b32 v24, v25 :: v_dual_mov_b32 v27, v25
	v_dual_mov_b32 v26, v25 :: v_dual_mov_b32 v29, v25
	;; [unrolled: 1-line block ×7, first 2 shown]
	v_mov_b32_e32 v40, v25
.LBB2_76:
	v_dual_add_nc_u32 v4, s17, v46 :: v_dual_bitop2_b32 v0, s27, v47 bitop3:0x54
	s_delay_alu instid0(VALU_DEP_1) | instskip(SKIP_1) | instid1(VALU_DEP_3)
	v_mul_lo_u32 v2, v4, s25
	v_cmp_gt_i32_e64 s3, s24, v4
	v_cmp_gt_i32_e32 vcc_lo, s25, v0
	s_and_b32 s1, s3, vcc_lo
	s_delay_alu instid0(SALU_CYCLE_1)
	s_and_saveexec_b32 s0, s1
	s_cbranch_execz .LBB2_78
; %bb.77:
	v_add_nc_u32_e32 v1, v0, v2
	global_store_b32 v1, v40, s[18:19] scale_offset
.LBB2_78:
	s_wait_xcnt 0x0
	s_or_b32 exec_lo, exec_lo, s0
	v_or_b32_e32 v1, 1, v0
	s_delay_alu instid0(VALU_DEP_1) | instskip(SKIP_1) | instid1(SALU_CYCLE_1)
	v_cmp_gt_i32_e64 s0, s25, v1
	s_and_b32 s2, s3, s0
	s_and_saveexec_b32 s1, s2
	s_cbranch_execz .LBB2_80
; %bb.79:
	v_dual_ashrrev_i32 v3, 31, v2 :: v_dual_ashrrev_i32 v1, 31, v0
	s_delay_alu instid0(VALU_DEP_1) | instskip(NEXT) | instid1(VALU_DEP_1)
	v_add_nc_u64_e32 v[6:7], v[0:1], v[2:3]
	v_lshl_add_u64 v[6:7], v[6:7], 2, s[18:19]
	global_store_b32 v[6:7], v41, off offset:4
.LBB2_80:
	s_wait_xcnt 0x0
	s_or_b32 exec_lo, exec_lo, s1
	v_or_b32_e32 v1, 2, v0
	s_delay_alu instid0(VALU_DEP_1) | instskip(SKIP_1) | instid1(SALU_CYCLE_1)
	v_cmp_gt_i32_e64 s1, s25, v1
	s_and_b32 s4, s3, s1
	s_and_saveexec_b32 s2, s4
	s_cbranch_execz .LBB2_82
; %bb.81:
	v_dual_ashrrev_i32 v3, 31, v2 :: v_dual_ashrrev_i32 v1, 31, v0
	s_delay_alu instid0(VALU_DEP_1) | instskip(NEXT) | instid1(VALU_DEP_1)
	v_add_nc_u64_e32 v[6:7], v[0:1], v[2:3]
	v_lshl_add_u64 v[6:7], v[6:7], 2, s[18:19]
	global_store_b32 v[6:7], v36, off offset:8
.LBB2_82:
	;; [unrolled: 15-line block ×3, first 2 shown]
	s_wait_xcnt 0x0
	s_or_b32 exec_lo, exec_lo, s3
	v_dual_add_nc_u32 v2, s25, v2 :: v_dual_bitop2_b32 v1, 1, v4 bitop3:0x54
	s_delay_alu instid0(VALU_DEP_1) | instskip(SKIP_1) | instid1(SALU_CYCLE_1)
	v_cmp_gt_i32_e64 s3, s24, v1
	s_and_b32 s5, s3, vcc_lo
	s_and_saveexec_b32 s4, s5
	s_cbranch_execnz .LBB2_99
; %bb.85:
	s_or_b32 exec_lo, exec_lo, s4
	s_and_b32 s5, s3, s0
	s_delay_alu instid0(SALU_CYCLE_1)
	s_and_saveexec_b32 s4, s5
	s_cbranch_execnz .LBB2_100
.LBB2_86:
	s_or_b32 exec_lo, exec_lo, s4
	s_and_b32 s5, s3, s1
	s_delay_alu instid0(SALU_CYCLE_1)
	s_and_saveexec_b32 s4, s5
	s_cbranch_execnz .LBB2_101
.LBB2_87:
	s_or_b32 exec_lo, exec_lo, s4
	s_and_b32 s4, s3, s2
	s_delay_alu instid0(SALU_CYCLE_1)
	s_and_saveexec_b32 s3, s4
	s_cbranch_execz .LBB2_89
.LBB2_88:
	v_dual_ashrrev_i32 v3, 31, v2 :: v_dual_ashrrev_i32 v1, 31, v0
	s_delay_alu instid0(VALU_DEP_1) | instskip(NEXT) | instid1(VALU_DEP_1)
	v_add_nc_u64_e32 v[6:7], v[0:1], v[2:3]
	v_lshl_add_u64 v[6:7], v[6:7], 2, s[18:19]
	global_store_b32 v[6:7], v33, off offset:12
.LBB2_89:
	s_wait_xcnt 0x0
	s_or_b32 exec_lo, exec_lo, s3
	v_dual_add_nc_u32 v2, s25, v2 :: v_dual_bitop2_b32 v1, 2, v4 bitop3:0x54
	s_delay_alu instid0(VALU_DEP_1) | instskip(SKIP_1) | instid1(SALU_CYCLE_1)
	v_cmp_gt_i32_e64 s3, s24, v1
	s_and_b32 s5, s3, vcc_lo
	s_and_saveexec_b32 s4, s5
	s_cbranch_execnz .LBB2_102
; %bb.90:
	s_or_b32 exec_lo, exec_lo, s4
	s_and_b32 s5, s3, s0
	s_delay_alu instid0(SALU_CYCLE_1)
	s_and_saveexec_b32 s4, s5
	s_cbranch_execnz .LBB2_103
.LBB2_91:
	s_or_b32 exec_lo, exec_lo, s4
	s_and_b32 s5, s3, s1
	s_delay_alu instid0(SALU_CYCLE_1)
	s_and_saveexec_b32 s4, s5
	s_cbranch_execnz .LBB2_104
.LBB2_92:
	s_or_b32 exec_lo, exec_lo, s4
	s_and_b32 s4, s3, s2
	s_delay_alu instid0(SALU_CYCLE_1)
	s_and_saveexec_b32 s3, s4
	s_cbranch_execz .LBB2_94
.LBB2_93:
	v_dual_ashrrev_i32 v3, 31, v2 :: v_dual_ashrrev_i32 v1, 31, v0
	s_delay_alu instid0(VALU_DEP_1) | instskip(NEXT) | instid1(VALU_DEP_1)
	v_add_nc_u64_e32 v[6:7], v[0:1], v[2:3]
	v_lshl_add_u64 v[6:7], v[6:7], 2, s[18:19]
	global_store_b32 v[6:7], v29, off offset:12
.LBB2_94:
	s_wait_xcnt 0x0
	s_or_b32 exec_lo, exec_lo, s3
	v_dual_add_nc_u32 v2, s25, v2 :: v_dual_bitop2_b32 v1, 3, v4 bitop3:0x54
	s_delay_alu instid0(VALU_DEP_1) | instskip(SKIP_1) | instid1(SALU_CYCLE_1)
	v_cmp_gt_i32_e64 s3, s24, v1
	s_and_b32 s5, s3, vcc_lo
	s_and_saveexec_b32 s4, s5
	s_cbranch_execnz .LBB2_105
; %bb.95:
	s_or_b32 exec_lo, exec_lo, s4
	s_and_b32 s4, s3, s0
	s_delay_alu instid0(SALU_CYCLE_1)
	s_and_saveexec_b32 s0, s4
	s_cbranch_execnz .LBB2_106
.LBB2_96:
	s_or_b32 exec_lo, exec_lo, s0
	s_and_b32 s1, s3, s1
	s_delay_alu instid0(SALU_CYCLE_1)
	s_and_saveexec_b32 s0, s1
	s_cbranch_execnz .LBB2_107
.LBB2_97:
	s_or_b32 exec_lo, exec_lo, s0
	s_and_b32 s0, s3, s2
	s_delay_alu instid0(SALU_CYCLE_1)
	s_and_saveexec_b32 s1, s0
	s_cbranch_execnz .LBB2_108
.LBB2_98:
	s_sendmsg sendmsg(MSG_DEALLOC_VGPRS)
	s_endpgm
.LBB2_99:
	v_add_nc_u32_e32 v1, v0, v2
	global_store_b32 v1, v38, s[18:19] scale_offset
	s_wait_xcnt 0x0
	s_or_b32 exec_lo, exec_lo, s4
	s_and_b32 s5, s3, s0
	s_delay_alu instid0(SALU_CYCLE_1)
	s_and_saveexec_b32 s4, s5
	s_cbranch_execz .LBB2_86
.LBB2_100:
	v_dual_ashrrev_i32 v3, 31, v2 :: v_dual_ashrrev_i32 v1, 31, v0
	s_delay_alu instid0(VALU_DEP_1) | instskip(NEXT) | instid1(VALU_DEP_1)
	v_add_nc_u64_e32 v[6:7], v[0:1], v[2:3]
	v_lshl_add_u64 v[6:7], v[6:7], 2, s[18:19]
	global_store_b32 v[6:7], v39, off offset:4
	s_wait_xcnt 0x0
	s_or_b32 exec_lo, exec_lo, s4
	s_and_b32 s5, s3, s1
	s_delay_alu instid0(SALU_CYCLE_1)
	s_and_saveexec_b32 s4, s5
	s_cbranch_execz .LBB2_87
.LBB2_101:
	v_dual_ashrrev_i32 v3, 31, v2 :: v_dual_ashrrev_i32 v1, 31, v0
	s_delay_alu instid0(VALU_DEP_1) | instskip(NEXT) | instid1(VALU_DEP_1)
	v_add_nc_u64_e32 v[6:7], v[0:1], v[2:3]
	v_lshl_add_u64 v[6:7], v[6:7], 2, s[18:19]
	global_store_b32 v[6:7], v32, off offset:8
	s_wait_xcnt 0x0
	s_or_b32 exec_lo, exec_lo, s4
	s_and_b32 s4, s3, s2
	s_delay_alu instid0(SALU_CYCLE_1)
	s_and_saveexec_b32 s3, s4
	s_cbranch_execnz .LBB2_88
	s_branch .LBB2_89
.LBB2_102:
	v_add_nc_u32_e32 v1, v0, v2
	global_store_b32 v1, v30, s[18:19] scale_offset
	s_wait_xcnt 0x0
	s_or_b32 exec_lo, exec_lo, s4
	s_and_b32 s5, s3, s0
	s_delay_alu instid0(SALU_CYCLE_1)
	s_and_saveexec_b32 s4, s5
	s_cbranch_execz .LBB2_91
.LBB2_103:
	v_dual_ashrrev_i32 v3, 31, v2 :: v_dual_ashrrev_i32 v1, 31, v0
	s_delay_alu instid0(VALU_DEP_1) | instskip(NEXT) | instid1(VALU_DEP_1)
	v_add_nc_u64_e32 v[6:7], v[0:1], v[2:3]
	v_lshl_add_u64 v[6:7], v[6:7], 2, s[18:19]
	global_store_b32 v[6:7], v31, off offset:4
	s_wait_xcnt 0x0
	s_or_b32 exec_lo, exec_lo, s4
	s_and_b32 s5, s3, s1
	s_delay_alu instid0(SALU_CYCLE_1)
	s_and_saveexec_b32 s4, s5
	s_cbranch_execz .LBB2_92
.LBB2_104:
	v_dual_ashrrev_i32 v3, 31, v2 :: v_dual_ashrrev_i32 v1, 31, v0
	s_delay_alu instid0(VALU_DEP_1) | instskip(NEXT) | instid1(VALU_DEP_1)
	v_add_nc_u64_e32 v[6:7], v[0:1], v[2:3]
	v_lshl_add_u64 v[6:7], v[6:7], 2, s[18:19]
	global_store_b32 v[6:7], v28, off offset:8
	s_wait_xcnt 0x0
	s_or_b32 exec_lo, exec_lo, s4
	s_and_b32 s4, s3, s2
	s_delay_alu instid0(SALU_CYCLE_1)
	s_and_saveexec_b32 s3, s4
	s_cbranch_execnz .LBB2_93
	s_branch .LBB2_94
.LBB2_105:
	v_add_nc_u32_e32 v1, v0, v2
	global_store_b32 v1, v26, s[18:19] scale_offset
	s_wait_xcnt 0x0
	s_or_b32 exec_lo, exec_lo, s4
	s_and_b32 s4, s3, s0
	s_delay_alu instid0(SALU_CYCLE_1)
	s_and_saveexec_b32 s0, s4
	s_cbranch_execz .LBB2_96
.LBB2_106:
	v_dual_ashrrev_i32 v3, 31, v2 :: v_dual_ashrrev_i32 v1, 31, v0
	s_delay_alu instid0(VALU_DEP_1) | instskip(NEXT) | instid1(VALU_DEP_1)
	v_add_nc_u64_e32 v[4:5], v[0:1], v[2:3]
	v_lshl_add_u64 v[4:5], v[4:5], 2, s[18:19]
	global_store_b32 v[4:5], v27, off offset:4
	s_wait_xcnt 0x0
	s_or_b32 exec_lo, exec_lo, s0
	s_and_b32 s1, s3, s1
	s_delay_alu instid0(SALU_CYCLE_1)
	s_and_saveexec_b32 s0, s1
	s_cbranch_execz .LBB2_97
.LBB2_107:
	v_dual_ashrrev_i32 v3, 31, v2 :: v_dual_ashrrev_i32 v1, 31, v0
	s_delay_alu instid0(VALU_DEP_1) | instskip(NEXT) | instid1(VALU_DEP_1)
	v_add_nc_u64_e32 v[4:5], v[0:1], v[2:3]
	v_lshl_add_u64 v[4:5], v[4:5], 2, s[18:19]
	global_store_b32 v[4:5], v24, off offset:8
	s_wait_xcnt 0x0
	s_or_b32 exec_lo, exec_lo, s0
	s_and_b32 s0, s3, s2
	s_delay_alu instid0(SALU_CYCLE_1)
	s_and_saveexec_b32 s1, s0
	s_cbranch_execz .LBB2_98
.LBB2_108:
	v_dual_ashrrev_i32 v3, 31, v2 :: v_dual_ashrrev_i32 v1, 31, v0
	s_delay_alu instid0(VALU_DEP_1) | instskip(NEXT) | instid1(VALU_DEP_1)
	v_add_nc_u64_e32 v[0:1], v[0:1], v[2:3]
	v_lshl_add_u64 v[0:1], v[0:1], 2, s[18:19]
	global_store_b32 v[0:1], v25, off offset:12
	s_sendmsg sendmsg(MSG_DEALLOC_VGPRS)
	s_endpgm
	.section	.rodata,"a",@progbits
	.p2align	6, 0x0
	.amdhsa_kernel _Z31matrix_multiply_register_tilingPfS_S_iii
		.amdhsa_group_segment_fixed_size 7168
		.amdhsa_private_segment_fixed_size 0
		.amdhsa_kernarg_size 296
		.amdhsa_user_sgpr_count 2
		.amdhsa_user_sgpr_dispatch_ptr 0
		.amdhsa_user_sgpr_queue_ptr 0
		.amdhsa_user_sgpr_kernarg_segment_ptr 1
		.amdhsa_user_sgpr_dispatch_id 0
		.amdhsa_user_sgpr_kernarg_preload_length 0
		.amdhsa_user_sgpr_kernarg_preload_offset 0
		.amdhsa_user_sgpr_private_segment_size 0
		.amdhsa_wavefront_size32 1
		.amdhsa_uses_dynamic_stack 0
		.amdhsa_enable_private_segment 0
		.amdhsa_system_sgpr_workgroup_id_x 1
		.amdhsa_system_sgpr_workgroup_id_y 1
		.amdhsa_system_sgpr_workgroup_id_z 0
		.amdhsa_system_sgpr_workgroup_info 0
		.amdhsa_system_vgpr_workitem_id 1
		.amdhsa_next_free_vgpr 98
		.amdhsa_next_free_sgpr 34
		.amdhsa_named_barrier_count 0
		.amdhsa_reserve_vcc 1
		.amdhsa_float_round_mode_32 0
		.amdhsa_float_round_mode_16_64 0
		.amdhsa_float_denorm_mode_32 3
		.amdhsa_float_denorm_mode_16_64 3
		.amdhsa_fp16_overflow 0
		.amdhsa_memory_ordered 1
		.amdhsa_forward_progress 1
		.amdhsa_inst_pref_size 39
		.amdhsa_round_robin_scheduling 0
		.amdhsa_exception_fp_ieee_invalid_op 0
		.amdhsa_exception_fp_denorm_src 0
		.amdhsa_exception_fp_ieee_div_zero 0
		.amdhsa_exception_fp_ieee_overflow 0
		.amdhsa_exception_fp_ieee_underflow 0
		.amdhsa_exception_fp_ieee_inexact 0
		.amdhsa_exception_int_div_zero 0
	.end_amdhsa_kernel
	.text
.Lfunc_end2:
	.size	_Z31matrix_multiply_register_tilingPfS_S_iii, .Lfunc_end2-_Z31matrix_multiply_register_tilingPfS_S_iii
                                        ; -- End function
	.set _Z31matrix_multiply_register_tilingPfS_S_iii.num_vgpr, 98
	.set _Z31matrix_multiply_register_tilingPfS_S_iii.num_agpr, 0
	.set _Z31matrix_multiply_register_tilingPfS_S_iii.numbered_sgpr, 34
	.set _Z31matrix_multiply_register_tilingPfS_S_iii.num_named_barrier, 0
	.set _Z31matrix_multiply_register_tilingPfS_S_iii.private_seg_size, 0
	.set _Z31matrix_multiply_register_tilingPfS_S_iii.uses_vcc, 1
	.set _Z31matrix_multiply_register_tilingPfS_S_iii.uses_flat_scratch, 0
	.set _Z31matrix_multiply_register_tilingPfS_S_iii.has_dyn_sized_stack, 0
	.set _Z31matrix_multiply_register_tilingPfS_S_iii.has_recursion, 0
	.set _Z31matrix_multiply_register_tilingPfS_S_iii.has_indirect_call, 0
	.section	.AMDGPU.csdata,"",@progbits
; Kernel info:
; codeLenInByte = 4924
; TotalNumSgprs: 36
; NumVgprs: 98
; ScratchSize: 0
; MemoryBound: 0
; FloatMode: 240
; IeeeMode: 1
; LDSByteSize: 7168 bytes/workgroup (compile time only)
; SGPRBlocks: 0
; VGPRBlocks: 6
; NumSGPRsForWavesPerEU: 36
; NumVGPRsForWavesPerEU: 98
; NamedBarCnt: 0
; Occupancy: 9
; WaveLimiterHint : 0
; COMPUTE_PGM_RSRC2:SCRATCH_EN: 0
; COMPUTE_PGM_RSRC2:USER_SGPR: 2
; COMPUTE_PGM_RSRC2:TRAP_HANDLER: 0
; COMPUTE_PGM_RSRC2:TGID_X_EN: 1
; COMPUTE_PGM_RSRC2:TGID_Y_EN: 1
; COMPUTE_PGM_RSRC2:TGID_Z_EN: 0
; COMPUTE_PGM_RSRC2:TIDIG_COMP_CNT: 1
	.text
	.p2alignl 7, 3214868480
	.fill 96, 4, 3214868480
	.section	.AMDGPU.gpr_maximums,"",@progbits
	.set amdgpu.max_num_vgpr, 0
	.set amdgpu.max_num_agpr, 0
	.set amdgpu.max_num_sgpr, 0
	.text
	.type	__hip_cuid_1d5a6d12de8db291,@object ; @__hip_cuid_1d5a6d12de8db291
	.section	.bss,"aw",@nobits
	.globl	__hip_cuid_1d5a6d12de8db291
__hip_cuid_1d5a6d12de8db291:
	.byte	0                               ; 0x0
	.size	__hip_cuid_1d5a6d12de8db291, 1

	.ident	"AMD clang version 22.0.0git (https://github.com/RadeonOpenCompute/llvm-project roc-7.2.4 26084 f58b06dce1f9c15707c5f808fd002e18c2accf7e)"
	.section	".note.GNU-stack","",@progbits
	.addrsig
	.addrsig_sym __hip_cuid_1d5a6d12de8db291
	.amdgpu_metadata
---
amdhsa.kernels:
  - .args:
      - .address_space:  global
        .offset:         0
        .size:           8
        .value_kind:     global_buffer
      - .address_space:  global
        .offset:         8
        .size:           8
        .value_kind:     global_buffer
      - .address_space:  global
        .offset:         16
        .size:           8
        .value_kind:     global_buffer
      - .offset:         24
        .size:           4
        .value_kind:     by_value
      - .offset:         28
        .size:           4
        .value_kind:     by_value
      - .offset:         32
        .size:           4
        .value_kind:     by_value
      - .offset:         40
        .size:           4
        .value_kind:     hidden_block_count_x
      - .offset:         44
        .size:           4
        .value_kind:     hidden_block_count_y
      - .offset:         48
        .size:           4
        .value_kind:     hidden_block_count_z
      - .offset:         52
        .size:           2
        .value_kind:     hidden_group_size_x
      - .offset:         54
        .size:           2
        .value_kind:     hidden_group_size_y
      - .offset:         56
        .size:           2
        .value_kind:     hidden_group_size_z
      - .offset:         58
        .size:           2
        .value_kind:     hidden_remainder_x
      - .offset:         60
        .size:           2
        .value_kind:     hidden_remainder_y
      - .offset:         62
        .size:           2
        .value_kind:     hidden_remainder_z
      - .offset:         80
        .size:           8
        .value_kind:     hidden_global_offset_x
      - .offset:         88
        .size:           8
        .value_kind:     hidden_global_offset_y
      - .offset:         96
        .size:           8
        .value_kind:     hidden_global_offset_z
      - .offset:         104
        .size:           2
        .value_kind:     hidden_grid_dims
    .group_segment_fixed_size: 0
    .kernarg_segment_align: 8
    .kernarg_segment_size: 296
    .language:       OpenCL C
    .language_version:
      - 2
      - 0
    .max_flat_workgroup_size: 1024
    .name:           _Z21matrix_multiply_naivePfS_S_iii
    .private_segment_fixed_size: 0
    .sgpr_count:     13
    .sgpr_spill_count: 0
    .symbol:         _Z21matrix_multiply_naivePfS_S_iii.kd
    .uniform_work_group_size: 1
    .uses_dynamic_stack: false
    .vgpr_count:     8
    .vgpr_spill_count: 0
    .wavefront_size: 32
  - .args:
      - .address_space:  global
        .offset:         0
        .size:           8
        .value_kind:     global_buffer
      - .address_space:  global
        .offset:         8
        .size:           8
        .value_kind:     global_buffer
      - .address_space:  global
        .offset:         16
        .size:           8
        .value_kind:     global_buffer
      - .offset:         24
        .size:           4
        .value_kind:     by_value
      - .offset:         28
        .size:           4
        .value_kind:     by_value
      - .offset:         32
        .size:           4
        .value_kind:     by_value
    .group_segment_fixed_size: 2048
    .kernarg_segment_align: 8
    .kernarg_segment_size: 36
    .language:       OpenCL C
    .language_version:
      - 2
      - 0
    .max_flat_workgroup_size: 1024
    .name:           _Z26matrix_multiply_lds_tilingPfS_S_iii
    .private_segment_fixed_size: 0
    .sgpr_count:     16
    .sgpr_spill_count: 0
    .symbol:         _Z26matrix_multiply_lds_tilingPfS_S_iii.kd
    .uniform_work_group_size: 1
    .uses_dynamic_stack: false
    .vgpr_count:     32
    .vgpr_spill_count: 0
    .wavefront_size: 32
  - .args:
      - .address_space:  global
        .offset:         0
        .size:           8
        .value_kind:     global_buffer
      - .address_space:  global
        .offset:         8
        .size:           8
        .value_kind:     global_buffer
      - .address_space:  global
        .offset:         16
        .size:           8
        .value_kind:     global_buffer
      - .offset:         24
        .size:           4
        .value_kind:     by_value
      - .offset:         28
        .size:           4
        .value_kind:     by_value
      - .offset:         32
        .size:           4
        .value_kind:     by_value
      - .offset:         40
        .size:           4
        .value_kind:     hidden_block_count_x
      - .offset:         44
        .size:           4
        .value_kind:     hidden_block_count_y
      - .offset:         48
        .size:           4
        .value_kind:     hidden_block_count_z
      - .offset:         52
        .size:           2
        .value_kind:     hidden_group_size_x
      - .offset:         54
        .size:           2
        .value_kind:     hidden_group_size_y
      - .offset:         56
        .size:           2
        .value_kind:     hidden_group_size_z
      - .offset:         58
        .size:           2
        .value_kind:     hidden_remainder_x
      - .offset:         60
        .size:           2
        .value_kind:     hidden_remainder_y
      - .offset:         62
        .size:           2
        .value_kind:     hidden_remainder_z
      - .offset:         80
        .size:           8
        .value_kind:     hidden_global_offset_x
      - .offset:         88
        .size:           8
        .value_kind:     hidden_global_offset_y
      - .offset:         96
        .size:           8
        .value_kind:     hidden_global_offset_z
      - .offset:         104
        .size:           2
        .value_kind:     hidden_grid_dims
    .group_segment_fixed_size: 7168
    .kernarg_segment_align: 8
    .kernarg_segment_size: 296
    .language:       OpenCL C
    .language_version:
      - 2
      - 0
    .max_flat_workgroup_size: 1024
    .name:           _Z31matrix_multiply_register_tilingPfS_S_iii
    .private_segment_fixed_size: 0
    .sgpr_count:     36
    .sgpr_spill_count: 0
    .symbol:         _Z31matrix_multiply_register_tilingPfS_S_iii.kd
    .uniform_work_group_size: 1
    .uses_dynamic_stack: false
    .vgpr_count:     98
    .vgpr_spill_count: 0
    .wavefront_size: 32
amdhsa.target:   amdgcn-amd-amdhsa--gfx1250
amdhsa.version:
  - 1
  - 2
...

	.end_amdgpu_metadata
